;; amdgpu-corpus repo=zjin-lcf/HeCBench kind=compiled arch=gfx1250 opt=O3
	.amdgcn_target "amdgcn-amd-amdhsa--gfx1250"
	.amdhsa_code_object_version 6
	.section	.text._Z10testKernelIiEvPT_m,"axG",@progbits,_Z10testKernelIiEvPT_m,comdat
	.protected	_Z10testKernelIiEvPT_m  ; -- Begin function _Z10testKernelIiEvPT_m
	.globl	_Z10testKernelIiEvPT_m
	.p2align	8
	.type	_Z10testKernelIiEvPT_m,@function
_Z10testKernelIiEvPT_m:                 ; @_Z10testKernelIiEvPT_m
; %bb.0:
	s_clause 0x1
	s_load_b32 s2, s[0:1], 0x1c
	s_load_b128 s[4:7], s[0:1], 0x0
	s_wait_xcnt 0x0
	s_bfe_u32 s0, ttmp6, 0x4000c
	s_and_b32 s1, ttmp6, 15
	s_add_co_i32 s0, s0, 1
	s_getreg_b32 s3, hwreg(HW_REG_IB_STS2, 6, 4)
	s_mul_i32 s0, ttmp9, s0
	v_mov_b32_e32 v1, 0
	s_add_co_i32 s1, s1, s0
	s_wait_kmcnt 0x0
	s_and_b32 s2, s2, 0xffff
	s_cmp_eq_u32 s3, 0
	s_cselect_b32 s0, ttmp9, s1
	s_delay_alu instid0(SALU_CYCLE_1) | instskip(SKIP_1) | instid1(VALU_DEP_1)
	v_mad_u32 v0, s0, s2, v0
	s_mov_b32 s0, exec_lo
	v_cmpx_gt_u64_e64 s[6:7], v[0:1]
	s_cbranch_execz .LBB0_26
; %bb.1:
	s_mov_b32 s1, exec_lo
	s_mov_b32 s0, exec_lo
	v_mbcnt_lo_u32_b32 v1, s1, 0
	s_delay_alu instid0(VALU_DEP_1)
	v_cmpx_eq_u32_e32 0, v1
	s_cbranch_execz .LBB0_3
; %bb.2:
	s_bcnt1_i32_b32 s1, s1
	s_delay_alu instid0(SALU_CYCLE_1) | instskip(NEXT) | instid1(SALU_CYCLE_1)
	s_mul_i32 s1, s1, 10
	v_dual_mov_b32 v1, 0 :: v_dual_mov_b32 v2, s1
	global_atomic_add_u32 v1, v2, s[4:5] scope:SCOPE_DEV
.LBB0_3:
	s_wait_xcnt 0x0
	s_or_b32 exec_lo, exec_lo, s0
	s_delay_alu instid0(SALU_CYCLE_1) | instskip(SKIP_2) | instid1(VALU_DEP_1)
	s_mov_b32 s1, exec_lo
	s_mov_b32 s0, exec_lo
	v_mbcnt_lo_u32_b32 v1, s1, 0
	v_cmpx_eq_u32_e32 0, v1
	s_cbranch_execz .LBB0_5
; %bb.4:
	s_bcnt1_i32_b32 s1, s1
	s_delay_alu instid0(SALU_CYCLE_1) | instskip(NEXT) | instid1(SALU_CYCLE_1)
	s_mul_i32 s1, s1, -10
	v_dual_mov_b32 v1, 0 :: v_dual_mov_b32 v2, s1
	global_atomic_add_u32 v1, v2, s[4:5] offset:4 scope:SCOPE_DEV
.LBB0_5:
	s_wait_xcnt 0x0
	s_or_b32 exec_lo, exec_lo, s0
	s_delay_alu instid0(SALU_CYCLE_1)
	s_mov_b32 s1, exec_lo
	s_brev_b32 s0, 1
.LBB0_6:                                ; =>This Inner Loop Header: Depth=1
	s_ctz_i32_b32 s2, s1
	s_delay_alu instid0(SALU_CYCLE_1) | instskip(SKIP_1) | instid1(SALU_CYCLE_1)
	v_readlane_b32 s3, v0, s2
	s_lshl_b32 s2, 1, s2
	s_and_not1_b32 s1, s1, s2
	s_max_i32 s0, s0, s3
	s_cmp_lg_u32 s1, 0
	s_cbranch_scc1 .LBB0_6
; %bb.7:
	v_mbcnt_lo_u32_b32 v1, exec_lo, 0
	s_mov_b32 s1, exec_lo
	s_delay_alu instid0(VALU_DEP_1)
	v_cmpx_eq_u32_e32 0, v1
	s_xor_b32 s1, exec_lo, s1
	s_cbranch_execz .LBB0_9
; %bb.8:
	v_dual_mov_b32 v1, 0 :: v_dual_mov_b32 v2, s0
	global_atomic_max_i32 v1, v2, s[4:5] offset:8 scope:SCOPE_DEV
.LBB0_9:
	s_wait_xcnt 0x0
	s_or_b32 exec_lo, exec_lo, s1
	s_delay_alu instid0(SALU_CYCLE_1)
	s_mov_b32 s1, exec_lo
	s_brev_b32 s0, -2
.LBB0_10:                               ; =>This Inner Loop Header: Depth=1
	s_ctz_i32_b32 s2, s1
	s_delay_alu instid0(SALU_CYCLE_1) | instskip(SKIP_1) | instid1(SALU_CYCLE_1)
	v_readlane_b32 s3, v0, s2
	s_lshl_b32 s2, 1, s2
	s_and_not1_b32 s1, s1, s2
	s_min_i32 s0, s0, s3
	s_cmp_lg_u32 s1, 0
	s_cbranch_scc1 .LBB0_10
; %bb.11:
	v_mbcnt_lo_u32_b32 v1, exec_lo, 0
	s_mov_b32 s1, exec_lo
	s_delay_alu instid0(VALU_DEP_1)
	v_cmpx_eq_u32_e32 0, v1
	s_xor_b32 s1, exec_lo, s1
	s_cbranch_execz .LBB0_13
; %bb.12:
	v_dual_mov_b32 v1, 0 :: v_dual_mov_b32 v2, s0
	global_atomic_min_i32 v1, v2, s[4:5] offset:12 scope:SCOPE_DEV
.LBB0_13:
	s_wait_xcnt 0x0
	s_or_b32 exec_lo, exec_lo, s1
	v_lshl_add_u32 v1, v0, 1, 7
	s_mov_b32 s0, exec_lo
	s_mov_b32 s1, -1
.LBB0_14:                               ; =>This Inner Loop Header: Depth=1
	s_ctz_i32_b32 s2, s0
	s_delay_alu instid0(VALU_DEP_1) | instid1(SALU_CYCLE_1)
	v_readlane_b32 s3, v1, s2
	s_lshl_b32 s2, 1, s2
	s_delay_alu instid0(SALU_CYCLE_1)
	s_and_not1_b32 s0, s0, s2
	s_and_b32 s1, s1, s3
	s_cmp_lg_u32 s0, 0
	s_cbranch_scc1 .LBB0_14
; %bb.15:
	v_mbcnt_lo_u32_b32 v1, exec_lo, 0
	s_mov_b32 s0, 0
	s_mov_b32 s2, exec_lo
	s_delay_alu instid0(VALU_DEP_1)
	v_cmpx_eq_u32_e32 0, v1
	s_xor_b32 s2, exec_lo, s2
	s_cbranch_execz .LBB0_17
; %bb.16:
	v_dual_mov_b32 v1, 0 :: v_dual_mov_b32 v2, s1
	global_atomic_and_b32 v1, v2, s[4:5] offset:16 scope:SCOPE_DEV
.LBB0_17:
	s_wait_xcnt 0x0
	s_or_b32 exec_lo, exec_lo, s2
	v_lshlrev_b32_e64 v1, v0, 1
	s_mov_b32 s1, exec_lo
.LBB0_18:                               ; =>This Inner Loop Header: Depth=1
	s_delay_alu instid0(SALU_CYCLE_1)
	s_ctz_i32_b32 s2, s1
	s_delay_alu instid0(VALU_DEP_1) | instid1(SALU_CYCLE_1)
	v_readlane_b32 s3, v1, s2
	s_lshl_b32 s2, 1, s2
	s_delay_alu instid0(SALU_CYCLE_1)
	s_and_not1_b32 s1, s1, s2
	s_or_b32 s0, s0, s3
	s_cmp_lg_u32 s1, 0
	s_cbranch_scc1 .LBB0_18
; %bb.19:
	v_mbcnt_lo_u32_b32 v1, exec_lo, 0
	s_mov_b32 s1, 0
	s_mov_b32 s2, exec_lo
	s_delay_alu instid0(VALU_DEP_1)
	v_cmpx_eq_u32_e32 0, v1
	s_xor_b32 s2, exec_lo, s2
	s_cbranch_execz .LBB0_21
; %bb.20:
	v_dual_mov_b32 v1, 0 :: v_dual_mov_b32 v2, s0
	global_atomic_or_b32 v1, v2, s[4:5] offset:20 scope:SCOPE_DEV
.LBB0_21:
	s_wait_xcnt 0x0
	s_or_b32 exec_lo, exec_lo, s2
	s_delay_alu instid0(SALU_CYCLE_1)
	s_mov_b32 s0, exec_lo
.LBB0_22:                               ; =>This Inner Loop Header: Depth=1
	s_delay_alu instid0(SALU_CYCLE_1) | instskip(NEXT) | instid1(SALU_CYCLE_1)
	s_ctz_i32_b32 s2, s0
	v_readlane_b32 s3, v0, s2
	s_lshl_b32 s2, 1, s2
	s_delay_alu instid0(SALU_CYCLE_1)
	s_and_not1_b32 s0, s0, s2
	s_xor_b32 s1, s1, s3
	s_cmp_lg_u32 s0, 0
	s_cbranch_scc1 .LBB0_22
; %bb.23:
	v_mbcnt_lo_u32_b32 v0, exec_lo, 0
	s_mov_b32 s0, exec_lo
	s_delay_alu instid0(VALU_DEP_1)
	v_cmpx_eq_u32_e32 0, v0
	s_xor_b32 s0, exec_lo, s0
	s_cbranch_execz .LBB0_25
; %bb.24:
	v_dual_mov_b32 v0, 0 :: v_dual_mov_b32 v1, s1
	global_atomic_xor_b32 v0, v1, s[4:5] offset:24 scope:SCOPE_DEV
.LBB0_25:
	s_wait_xcnt 0x0
	s_or_b32 exec_lo, exec_lo, s0
	v_dual_mov_b32 v0, 0 :: v_dual_mov_b32 v1, 17
	v_mov_b32_e32 v2, 0x89
	global_atomic_inc_u32 v0, v1, s[4:5] offset:28 scope:SCOPE_DEV
	s_wait_xcnt 0x0
	global_atomic_dec_u32 v0, v2, s[4:5] offset:32 scope:SCOPE_DEV
.LBB0_26:
	s_endpgm
	.section	.rodata,"a",@progbits
	.p2align	6, 0x0
	.amdhsa_kernel _Z10testKernelIiEvPT_m
		.amdhsa_group_segment_fixed_size 0
		.amdhsa_private_segment_fixed_size 0
		.amdhsa_kernarg_size 272
		.amdhsa_user_sgpr_count 2
		.amdhsa_user_sgpr_dispatch_ptr 0
		.amdhsa_user_sgpr_queue_ptr 0
		.amdhsa_user_sgpr_kernarg_segment_ptr 1
		.amdhsa_user_sgpr_dispatch_id 0
		.amdhsa_user_sgpr_kernarg_preload_length 0
		.amdhsa_user_sgpr_kernarg_preload_offset 0
		.amdhsa_user_sgpr_private_segment_size 0
		.amdhsa_wavefront_size32 1
		.amdhsa_uses_dynamic_stack 0
		.amdhsa_enable_private_segment 0
		.amdhsa_system_sgpr_workgroup_id_x 1
		.amdhsa_system_sgpr_workgroup_id_y 0
		.amdhsa_system_sgpr_workgroup_id_z 0
		.amdhsa_system_sgpr_workgroup_info 0
		.amdhsa_system_vgpr_workitem_id 0
		.amdhsa_next_free_vgpr 3
		.amdhsa_next_free_sgpr 8
		.amdhsa_named_barrier_count 0
		.amdhsa_reserve_vcc 0
		.amdhsa_float_round_mode_32 0
		.amdhsa_float_round_mode_16_64 0
		.amdhsa_float_denorm_mode_32 3
		.amdhsa_float_denorm_mode_16_64 3
		.amdhsa_fp16_overflow 0
		.amdhsa_memory_ordered 1
		.amdhsa_forward_progress 1
		.amdhsa_inst_pref_size 7
		.amdhsa_round_robin_scheduling 0
		.amdhsa_exception_fp_ieee_invalid_op 0
		.amdhsa_exception_fp_denorm_src 0
		.amdhsa_exception_fp_ieee_div_zero 0
		.amdhsa_exception_fp_ieee_overflow 0
		.amdhsa_exception_fp_ieee_underflow 0
		.amdhsa_exception_fp_ieee_inexact 0
		.amdhsa_exception_int_div_zero 0
	.end_amdhsa_kernel
	.section	.text._Z10testKernelIiEvPT_m,"axG",@progbits,_Z10testKernelIiEvPT_m,comdat
.Lfunc_end0:
	.size	_Z10testKernelIiEvPT_m, .Lfunc_end0-_Z10testKernelIiEvPT_m
                                        ; -- End function
	.set _Z10testKernelIiEvPT_m.num_vgpr, 3
	.set _Z10testKernelIiEvPT_m.num_agpr, 0
	.set _Z10testKernelIiEvPT_m.numbered_sgpr, 8
	.set _Z10testKernelIiEvPT_m.num_named_barrier, 0
	.set _Z10testKernelIiEvPT_m.private_seg_size, 0
	.set _Z10testKernelIiEvPT_m.uses_vcc, 0
	.set _Z10testKernelIiEvPT_m.uses_flat_scratch, 0
	.set _Z10testKernelIiEvPT_m.has_dyn_sized_stack, 0
	.set _Z10testKernelIiEvPT_m.has_recursion, 0
	.set _Z10testKernelIiEvPT_m.has_indirect_call, 0
	.section	.AMDGPU.csdata,"",@progbits
; Kernel info:
; codeLenInByte = 832
; TotalNumSgprs: 8
; NumVgprs: 3
; ScratchSize: 0
; MemoryBound: 0
; FloatMode: 240
; IeeeMode: 1
; LDSByteSize: 0 bytes/workgroup (compile time only)
; SGPRBlocks: 0
; VGPRBlocks: 0
; NumSGPRsForWavesPerEU: 8
; NumVGPRsForWavesPerEU: 3
; NamedBarCnt: 0
; Occupancy: 16
; WaveLimiterHint : 0
; COMPUTE_PGM_RSRC2:SCRATCH_EN: 0
; COMPUTE_PGM_RSRC2:USER_SGPR: 2
; COMPUTE_PGM_RSRC2:TRAP_HANDLER: 0
; COMPUTE_PGM_RSRC2:TGID_X_EN: 1
; COMPUTE_PGM_RSRC2:TGID_Y_EN: 0
; COMPUTE_PGM_RSRC2:TGID_Z_EN: 0
; COMPUTE_PGM_RSRC2:TIDIG_COMP_CNT: 0
	.section	.text._Z10testKernelIjEvPT_m,"axG",@progbits,_Z10testKernelIjEvPT_m,comdat
	.protected	_Z10testKernelIjEvPT_m  ; -- Begin function _Z10testKernelIjEvPT_m
	.globl	_Z10testKernelIjEvPT_m
	.p2align	8
	.type	_Z10testKernelIjEvPT_m,@function
_Z10testKernelIjEvPT_m:                 ; @_Z10testKernelIjEvPT_m
; %bb.0:
	s_clause 0x1
	s_load_b32 s2, s[0:1], 0x1c
	s_load_b128 s[4:7], s[0:1], 0x0
	s_wait_xcnt 0x0
	s_bfe_u32 s0, ttmp6, 0x4000c
	s_and_b32 s1, ttmp6, 15
	s_add_co_i32 s0, s0, 1
	s_getreg_b32 s3, hwreg(HW_REG_IB_STS2, 6, 4)
	s_mul_i32 s0, ttmp9, s0
	v_mov_b32_e32 v1, 0
	s_add_co_i32 s1, s1, s0
	s_wait_kmcnt 0x0
	s_and_b32 s2, s2, 0xffff
	s_cmp_eq_u32 s3, 0
	s_cselect_b32 s0, ttmp9, s1
	s_delay_alu instid0(SALU_CYCLE_1) | instskip(SKIP_1) | instid1(VALU_DEP_1)
	v_mad_u32 v0, s0, s2, v0
	s_mov_b32 s0, exec_lo
	v_cmpx_gt_u64_e64 s[6:7], v[0:1]
	s_cbranch_execz .LBB1_26
; %bb.1:
	s_mov_b32 s1, exec_lo
	s_mov_b32 s0, exec_lo
	v_mbcnt_lo_u32_b32 v1, s1, 0
	s_delay_alu instid0(VALU_DEP_1)
	v_cmpx_eq_u32_e32 0, v1
	s_cbranch_execz .LBB1_3
; %bb.2:
	s_bcnt1_i32_b32 s1, s1
	s_delay_alu instid0(SALU_CYCLE_1) | instskip(NEXT) | instid1(SALU_CYCLE_1)
	s_mul_i32 s1, s1, 10
	v_dual_mov_b32 v1, 0 :: v_dual_mov_b32 v2, s1
	global_atomic_add_u32 v1, v2, s[4:5] scope:SCOPE_DEV
.LBB1_3:
	s_wait_xcnt 0x0
	s_or_b32 exec_lo, exec_lo, s0
	s_delay_alu instid0(SALU_CYCLE_1) | instskip(SKIP_3) | instid1(VALU_DEP_1)
	s_mov_b32 s2, exec_lo
	s_mov_b32 s0, 0
	v_mbcnt_lo_u32_b32 v1, s2, 0
	s_mov_b32 s1, exec_lo
	v_cmpx_eq_u32_e32 0, v1
	s_cbranch_execz .LBB1_5
; %bb.4:
	s_bcnt1_i32_b32 s2, s2
	s_delay_alu instid0(SALU_CYCLE_1) | instskip(NEXT) | instid1(SALU_CYCLE_1)
	s_mul_i32 s2, s2, -10
	v_dual_mov_b32 v1, 0 :: v_dual_mov_b32 v2, s2
	global_atomic_add_u32 v1, v2, s[4:5] offset:4 scope:SCOPE_DEV
.LBB1_5:
	s_wait_xcnt 0x0
	s_or_b32 exec_lo, exec_lo, s1
	s_delay_alu instid0(SALU_CYCLE_1)
	s_mov_b32 s1, exec_lo
.LBB1_6:                                ; =>This Inner Loop Header: Depth=1
	s_delay_alu instid0(SALU_CYCLE_1) | instskip(NEXT) | instid1(SALU_CYCLE_1)
	s_ctz_i32_b32 s2, s1
	v_readlane_b32 s3, v0, s2
	s_lshl_b32 s2, 1, s2
	s_delay_alu instid0(SALU_CYCLE_1)
	s_and_not1_b32 s1, s1, s2
	s_max_u32 s0, s0, s3
	s_cmp_lg_u32 s1, 0
	s_cbranch_scc1 .LBB1_6
; %bb.7:
	v_mbcnt_lo_u32_b32 v1, exec_lo, 0
	s_mov_b32 s1, exec_lo
	s_delay_alu instid0(VALU_DEP_1)
	v_cmpx_eq_u32_e32 0, v1
	s_xor_b32 s1, exec_lo, s1
	s_cbranch_execz .LBB1_9
; %bb.8:
	v_dual_mov_b32 v1, 0 :: v_dual_mov_b32 v2, s0
	global_atomic_max_u32 v1, v2, s[4:5] offset:8 scope:SCOPE_DEV
.LBB1_9:
	s_wait_xcnt 0x0
	s_or_b32 exec_lo, exec_lo, s1
	s_delay_alu instid0(SALU_CYCLE_1)
	s_mov_b32 s1, exec_lo
	s_mov_b32 s0, -1
.LBB1_10:                               ; =>This Inner Loop Header: Depth=1
	s_ctz_i32_b32 s2, s1
	s_delay_alu instid0(SALU_CYCLE_1) | instskip(SKIP_1) | instid1(SALU_CYCLE_1)
	v_readlane_b32 s3, v0, s2
	s_lshl_b32 s2, 1, s2
	s_and_not1_b32 s1, s1, s2
	s_min_u32 s0, s0, s3
	s_cmp_lg_u32 s1, 0
	s_cbranch_scc1 .LBB1_10
; %bb.11:
	v_mbcnt_lo_u32_b32 v1, exec_lo, 0
	s_mov_b32 s1, exec_lo
	s_delay_alu instid0(VALU_DEP_1)
	v_cmpx_eq_u32_e32 0, v1
	s_xor_b32 s1, exec_lo, s1
	s_cbranch_execz .LBB1_13
; %bb.12:
	v_dual_mov_b32 v1, 0 :: v_dual_mov_b32 v2, s0
	global_atomic_min_u32 v1, v2, s[4:5] offset:12 scope:SCOPE_DEV
.LBB1_13:
	s_wait_xcnt 0x0
	s_or_b32 exec_lo, exec_lo, s1
	v_lshl_add_u32 v1, v0, 1, 7
	s_mov_b32 s0, exec_lo
	s_mov_b32 s1, -1
.LBB1_14:                               ; =>This Inner Loop Header: Depth=1
	s_ctz_i32_b32 s2, s0
	s_delay_alu instid0(VALU_DEP_1) | instid1(SALU_CYCLE_1)
	v_readlane_b32 s3, v1, s2
	s_lshl_b32 s2, 1, s2
	s_delay_alu instid0(SALU_CYCLE_1)
	s_and_not1_b32 s0, s0, s2
	s_and_b32 s1, s1, s3
	s_cmp_lg_u32 s0, 0
	s_cbranch_scc1 .LBB1_14
; %bb.15:
	v_mbcnt_lo_u32_b32 v1, exec_lo, 0
	s_mov_b32 s0, 0
	s_mov_b32 s2, exec_lo
	s_delay_alu instid0(VALU_DEP_1)
	v_cmpx_eq_u32_e32 0, v1
	s_xor_b32 s2, exec_lo, s2
	s_cbranch_execz .LBB1_17
; %bb.16:
	v_dual_mov_b32 v1, 0 :: v_dual_mov_b32 v2, s1
	global_atomic_and_b32 v1, v2, s[4:5] offset:16 scope:SCOPE_DEV
.LBB1_17:
	s_wait_xcnt 0x0
	s_or_b32 exec_lo, exec_lo, s2
	v_lshlrev_b32_e64 v1, v0, 1
	s_mov_b32 s1, exec_lo
.LBB1_18:                               ; =>This Inner Loop Header: Depth=1
	s_delay_alu instid0(SALU_CYCLE_1)
	s_ctz_i32_b32 s2, s1
	s_delay_alu instid0(VALU_DEP_1) | instid1(SALU_CYCLE_1)
	v_readlane_b32 s3, v1, s2
	s_lshl_b32 s2, 1, s2
	s_delay_alu instid0(SALU_CYCLE_1)
	s_and_not1_b32 s1, s1, s2
	s_or_b32 s0, s0, s3
	s_cmp_lg_u32 s1, 0
	s_cbranch_scc1 .LBB1_18
; %bb.19:
	v_mbcnt_lo_u32_b32 v1, exec_lo, 0
	s_mov_b32 s1, 0
	s_mov_b32 s2, exec_lo
	s_delay_alu instid0(VALU_DEP_1)
	v_cmpx_eq_u32_e32 0, v1
	s_xor_b32 s2, exec_lo, s2
	s_cbranch_execz .LBB1_21
; %bb.20:
	v_dual_mov_b32 v1, 0 :: v_dual_mov_b32 v2, s0
	global_atomic_or_b32 v1, v2, s[4:5] offset:20 scope:SCOPE_DEV
.LBB1_21:
	s_wait_xcnt 0x0
	s_or_b32 exec_lo, exec_lo, s2
	s_delay_alu instid0(SALU_CYCLE_1)
	s_mov_b32 s0, exec_lo
.LBB1_22:                               ; =>This Inner Loop Header: Depth=1
	s_delay_alu instid0(SALU_CYCLE_1) | instskip(NEXT) | instid1(SALU_CYCLE_1)
	s_ctz_i32_b32 s2, s0
	v_readlane_b32 s3, v0, s2
	s_lshl_b32 s2, 1, s2
	s_delay_alu instid0(SALU_CYCLE_1)
	s_and_not1_b32 s0, s0, s2
	s_xor_b32 s1, s1, s3
	s_cmp_lg_u32 s0, 0
	s_cbranch_scc1 .LBB1_22
; %bb.23:
	v_mbcnt_lo_u32_b32 v0, exec_lo, 0
	s_mov_b32 s0, exec_lo
	s_delay_alu instid0(VALU_DEP_1)
	v_cmpx_eq_u32_e32 0, v0
	s_xor_b32 s0, exec_lo, s0
	s_cbranch_execz .LBB1_25
; %bb.24:
	v_dual_mov_b32 v0, 0 :: v_dual_mov_b32 v1, s1
	global_atomic_xor_b32 v0, v1, s[4:5] offset:24 scope:SCOPE_DEV
.LBB1_25:
	s_wait_xcnt 0x0
	s_or_b32 exec_lo, exec_lo, s0
	v_dual_mov_b32 v0, 0 :: v_dual_mov_b32 v1, 17
	v_mov_b32_e32 v2, 0x89
	global_atomic_inc_u32 v0, v1, s[4:5] offset:28 scope:SCOPE_DEV
	s_wait_xcnt 0x0
	global_atomic_dec_u32 v0, v2, s[4:5] offset:32 scope:SCOPE_DEV
.LBB1_26:
	s_endpgm
	.section	.rodata,"a",@progbits
	.p2align	6, 0x0
	.amdhsa_kernel _Z10testKernelIjEvPT_m
		.amdhsa_group_segment_fixed_size 0
		.amdhsa_private_segment_fixed_size 0
		.amdhsa_kernarg_size 272
		.amdhsa_user_sgpr_count 2
		.amdhsa_user_sgpr_dispatch_ptr 0
		.amdhsa_user_sgpr_queue_ptr 0
		.amdhsa_user_sgpr_kernarg_segment_ptr 1
		.amdhsa_user_sgpr_dispatch_id 0
		.amdhsa_user_sgpr_kernarg_preload_length 0
		.amdhsa_user_sgpr_kernarg_preload_offset 0
		.amdhsa_user_sgpr_private_segment_size 0
		.amdhsa_wavefront_size32 1
		.amdhsa_uses_dynamic_stack 0
		.amdhsa_enable_private_segment 0
		.amdhsa_system_sgpr_workgroup_id_x 1
		.amdhsa_system_sgpr_workgroup_id_y 0
		.amdhsa_system_sgpr_workgroup_id_z 0
		.amdhsa_system_sgpr_workgroup_info 0
		.amdhsa_system_vgpr_workitem_id 0
		.amdhsa_next_free_vgpr 3
		.amdhsa_next_free_sgpr 8
		.amdhsa_named_barrier_count 0
		.amdhsa_reserve_vcc 0
		.amdhsa_float_round_mode_32 0
		.amdhsa_float_round_mode_16_64 0
		.amdhsa_float_denorm_mode_32 3
		.amdhsa_float_denorm_mode_16_64 3
		.amdhsa_fp16_overflow 0
		.amdhsa_memory_ordered 1
		.amdhsa_forward_progress 1
		.amdhsa_inst_pref_size 7
		.amdhsa_round_robin_scheduling 0
		.amdhsa_exception_fp_ieee_invalid_op 0
		.amdhsa_exception_fp_denorm_src 0
		.amdhsa_exception_fp_ieee_div_zero 0
		.amdhsa_exception_fp_ieee_overflow 0
		.amdhsa_exception_fp_ieee_underflow 0
		.amdhsa_exception_fp_ieee_inexact 0
		.amdhsa_exception_int_div_zero 0
	.end_amdhsa_kernel
	.section	.text._Z10testKernelIjEvPT_m,"axG",@progbits,_Z10testKernelIjEvPT_m,comdat
.Lfunc_end1:
	.size	_Z10testKernelIjEvPT_m, .Lfunc_end1-_Z10testKernelIjEvPT_m
                                        ; -- End function
	.set _Z10testKernelIjEvPT_m.num_vgpr, 3
	.set _Z10testKernelIjEvPT_m.num_agpr, 0
	.set _Z10testKernelIjEvPT_m.numbered_sgpr, 8
	.set _Z10testKernelIjEvPT_m.num_named_barrier, 0
	.set _Z10testKernelIjEvPT_m.private_seg_size, 0
	.set _Z10testKernelIjEvPT_m.uses_vcc, 0
	.set _Z10testKernelIjEvPT_m.uses_flat_scratch, 0
	.set _Z10testKernelIjEvPT_m.has_dyn_sized_stack, 0
	.set _Z10testKernelIjEvPT_m.has_recursion, 0
	.set _Z10testKernelIjEvPT_m.has_indirect_call, 0
	.section	.AMDGPU.csdata,"",@progbits
; Kernel info:
; codeLenInByte = 836
; TotalNumSgprs: 8
; NumVgprs: 3
; ScratchSize: 0
; MemoryBound: 0
; FloatMode: 240
; IeeeMode: 1
; LDSByteSize: 0 bytes/workgroup (compile time only)
; SGPRBlocks: 0
; VGPRBlocks: 0
; NumSGPRsForWavesPerEU: 8
; NumVGPRsForWavesPerEU: 3
; NamedBarCnt: 0
; Occupancy: 16
; WaveLimiterHint : 0
; COMPUTE_PGM_RSRC2:SCRATCH_EN: 0
; COMPUTE_PGM_RSRC2:USER_SGPR: 2
; COMPUTE_PGM_RSRC2:TRAP_HANDLER: 0
; COMPUTE_PGM_RSRC2:TGID_X_EN: 1
; COMPUTE_PGM_RSRC2:TGID_Y_EN: 0
; COMPUTE_PGM_RSRC2:TGID_Z_EN: 0
; COMPUTE_PGM_RSRC2:TIDIG_COMP_CNT: 0
	.section	.AMDGPU.gpr_maximums,"",@progbits
	.set amdgpu.max_num_vgpr, 0
	.set amdgpu.max_num_agpr, 0
	.set amdgpu.max_num_sgpr, 0
	.section	.AMDGPU.csdata,"",@progbits
	.type	__hip_cuid_4f7d4cc77d2cc3c9,@object ; @__hip_cuid_4f7d4cc77d2cc3c9
	.section	.bss,"aw",@nobits
	.globl	__hip_cuid_4f7d4cc77d2cc3c9
__hip_cuid_4f7d4cc77d2cc3c9:
	.byte	0                               ; 0x0
	.size	__hip_cuid_4f7d4cc77d2cc3c9, 1

	.ident	"AMD clang version 22.0.0git (https://github.com/RadeonOpenCompute/llvm-project roc-7.2.4 26084 f58b06dce1f9c15707c5f808fd002e18c2accf7e)"
	.section	".note.GNU-stack","",@progbits
	.addrsig
	.addrsig_sym __hip_cuid_4f7d4cc77d2cc3c9
	.amdgpu_metadata
---
amdhsa.kernels:
  - .args:
      - .address_space:  global
        .offset:         0
        .size:           8
        .value_kind:     global_buffer
      - .offset:         8
        .size:           8
        .value_kind:     by_value
      - .offset:         16
        .size:           4
        .value_kind:     hidden_block_count_x
      - .offset:         20
        .size:           4
        .value_kind:     hidden_block_count_y
      - .offset:         24
        .size:           4
        .value_kind:     hidden_block_count_z
      - .offset:         28
        .size:           2
        .value_kind:     hidden_group_size_x
      - .offset:         30
        .size:           2
        .value_kind:     hidden_group_size_y
      - .offset:         32
        .size:           2
        .value_kind:     hidden_group_size_z
      - .offset:         34
        .size:           2
        .value_kind:     hidden_remainder_x
      - .offset:         36
        .size:           2
        .value_kind:     hidden_remainder_y
      - .offset:         38
        .size:           2
        .value_kind:     hidden_remainder_z
      - .offset:         56
        .size:           8
        .value_kind:     hidden_global_offset_x
      - .offset:         64
        .size:           8
        .value_kind:     hidden_global_offset_y
      - .offset:         72
        .size:           8
        .value_kind:     hidden_global_offset_z
      - .offset:         80
        .size:           2
        .value_kind:     hidden_grid_dims
    .group_segment_fixed_size: 0
    .kernarg_segment_align: 8
    .kernarg_segment_size: 272
    .language:       OpenCL C
    .language_version:
      - 2
      - 0
    .max_flat_workgroup_size: 1024
    .name:           _Z10testKernelIiEvPT_m
    .private_segment_fixed_size: 0
    .sgpr_count:     8
    .sgpr_spill_count: 0
    .symbol:         _Z10testKernelIiEvPT_m.kd
    .uniform_work_group_size: 1
    .uses_dynamic_stack: false
    .vgpr_count:     3
    .vgpr_spill_count: 0
    .wavefront_size: 32
  - .args:
      - .address_space:  global
        .offset:         0
        .size:           8
        .value_kind:     global_buffer
      - .offset:         8
        .size:           8
        .value_kind:     by_value
      - .offset:         16
        .size:           4
        .value_kind:     hidden_block_count_x
      - .offset:         20
        .size:           4
        .value_kind:     hidden_block_count_y
      - .offset:         24
        .size:           4
        .value_kind:     hidden_block_count_z
      - .offset:         28
        .size:           2
        .value_kind:     hidden_group_size_x
      - .offset:         30
        .size:           2
        .value_kind:     hidden_group_size_y
      - .offset:         32
        .size:           2
        .value_kind:     hidden_group_size_z
      - .offset:         34
        .size:           2
        .value_kind:     hidden_remainder_x
      - .offset:         36
        .size:           2
        .value_kind:     hidden_remainder_y
      - .offset:         38
        .size:           2
        .value_kind:     hidden_remainder_z
      - .offset:         56
        .size:           8
        .value_kind:     hidden_global_offset_x
      - .offset:         64
        .size:           8
        .value_kind:     hidden_global_offset_y
      - .offset:         72
        .size:           8
        .value_kind:     hidden_global_offset_z
      - .offset:         80
        .size:           2
        .value_kind:     hidden_grid_dims
    .group_segment_fixed_size: 0
    .kernarg_segment_align: 8
    .kernarg_segment_size: 272
    .language:       OpenCL C
    .language_version:
      - 2
      - 0
    .max_flat_workgroup_size: 1024
    .name:           _Z10testKernelIjEvPT_m
    .private_segment_fixed_size: 0
    .sgpr_count:     8
    .sgpr_spill_count: 0
    .symbol:         _Z10testKernelIjEvPT_m.kd
    .uniform_work_group_size: 1
    .uses_dynamic_stack: false
    .vgpr_count:     3
    .vgpr_spill_count: 0
    .wavefront_size: 32
amdhsa.target:   amdgcn-amd-amdhsa--gfx1250
amdhsa.version:
  - 1
  - 2
...

	.end_amdgpu_metadata
